;; amdgpu-corpus repo=ROCm/rocFFT kind=compiled arch=gfx906 opt=O3
	.text
	.amdgcn_target "amdgcn-amd-amdhsa--gfx906"
	.amdhsa_code_object_version 6
	.protected	bluestein_single_back_len800_dim1_dp_op_CI_CI ; -- Begin function bluestein_single_back_len800_dim1_dp_op_CI_CI
	.globl	bluestein_single_back_len800_dim1_dp_op_CI_CI
	.p2align	8
	.type	bluestein_single_back_len800_dim1_dp_op_CI_CI,@function
bluestein_single_back_len800_dim1_dp_op_CI_CI: ; @bluestein_single_back_len800_dim1_dp_op_CI_CI
; %bb.0:
	s_load_dwordx4 s[0:3], s[4:5], 0x28
	v_mul_u32_u24_e32 v1, 0x19a, v0
	v_add_u32_sdwa v116, s6, v1 dst_sel:DWORD dst_unused:UNUSED_PAD src0_sel:DWORD src1_sel:WORD_1
	v_mov_b32_e32 v117, 0
	s_waitcnt lgkmcnt(0)
	v_cmp_gt_u64_e32 vcc, s[0:1], v[116:117]
	s_and_saveexec_b64 s[0:1], vcc
	s_cbranch_execz .LBB0_23
; %bb.1:
	s_load_dwordx2 s[12:13], s[4:5], 0x0
	s_load_dwordx2 s[6:7], s[4:5], 0x38
	s_movk_i32 s0, 0xa0
	v_mul_lo_u16_sdwa v1, v1, s0 dst_sel:DWORD dst_unused:UNUSED_PAD src0_sel:WORD_1 src1_sel:DWORD
	v_sub_u16_e32 v134, v0, v1
	v_cmp_gt_u16_e64 s[0:1], 50, v134
	v_lshlrev_b32_e32 v133, 4, v134
	s_and_saveexec_b64 s[14:15], s[0:1]
	s_cbranch_execz .LBB0_3
; %bb.2:
	s_load_dwordx2 s[8:9], s[4:5], 0x18
	s_waitcnt lgkmcnt(0)
	s_load_dwordx4 s[8:11], s[8:9], 0x0
	s_waitcnt lgkmcnt(0)
	v_mad_u64_u32 v[0:1], s[16:17], s10, v116, 0
	v_mad_u64_u32 v[2:3], s[16:17], s8, v134, 0
	;; [unrolled: 1-line block ×4, first 2 shown]
	v_mov_b32_e32 v1, v4
	v_lshlrev_b64 v[0:1], 4, v[0:1]
	v_mov_b32_e32 v3, v5
	v_mov_b32_e32 v6, s3
	v_lshlrev_b64 v[2:3], 4, v[2:3]
	v_add_co_u32_e32 v0, vcc, s2, v0
	v_addc_co_u32_e32 v1, vcc, v6, v1, vcc
	v_add_co_u32_e32 v16, vcc, v0, v2
	v_addc_co_u32_e32 v17, vcc, v1, v3, vcc
	v_mov_b32_e32 v0, s13
	v_add_co_u32_e32 v44, vcc, s12, v133
	s_mul_i32 s2, s9, 0x320
	s_mul_hi_u32 s3, s8, 0x320
	v_addc_co_u32_e32 v45, vcc, 0, v0, vcc
	s_add_i32 s2, s3, s2
	s_mul_i32 s3, s8, 0x320
	v_mov_b32_e32 v0, s2
	v_add_co_u32_e32 v18, vcc, s3, v16
	v_addc_co_u32_e32 v19, vcc, v17, v0, vcc
	global_load_dwordx4 v[0:3], v[16:17], off
	global_load_dwordx4 v[4:7], v[18:19], off
	global_load_dwordx4 v[8:11], v133, s[12:13]
	global_load_dwordx4 v[12:15], v133, s[12:13] offset:800
	v_mov_b32_e32 v16, s2
	v_add_co_u32_e32 v32, vcc, s3, v18
	v_addc_co_u32_e32 v33, vcc, v19, v16, vcc
	v_add_co_u32_e32 v34, vcc, s3, v32
	v_addc_co_u32_e32 v35, vcc, v33, v16, vcc
	global_load_dwordx4 v[20:23], v[32:33], off
	global_load_dwordx4 v[16:19], v[34:35], off
	global_load_dwordx4 v[24:27], v133, s[12:13] offset:1600
	global_load_dwordx4 v[28:31], v133, s[12:13] offset:2400
	v_mov_b32_e32 v32, s2
	v_add_co_u32_e32 v36, vcc, s3, v34
	v_addc_co_u32_e32 v37, vcc, v35, v32, vcc
	v_mov_b32_e32 v38, s2
	v_add_co_u32_e32 v50, vcc, s3, v36
	v_addc_co_u32_e32 v51, vcc, v37, v38, vcc
	;; [unrolled: 3-line block ×3, first 2 shown]
	s_movk_i32 s8, 0x1000
	v_add_co_u32_e32 v90, vcc, s8, v44
	v_addc_co_u32_e32 v91, vcc, 0, v45, vcc
	v_mov_b32_e32 v56, s2
	v_add_co_u32_e32 v66, vcc, s3, v54
	global_load_dwordx4 v[32:35], v[36:37], off
	v_addc_co_u32_e32 v67, vcc, v55, v56, vcc
	global_load_dwordx4 v[36:39], v[50:51], off
	global_load_dwordx4 v[40:43], v133, s[12:13] offset:3200
	global_load_dwordx4 v[46:49], v133, s[12:13] offset:4000
	v_mov_b32_e32 v68, s2
	v_add_co_u32_e32 v70, vcc, s3, v66
	global_load_dwordx4 v[50:53], v[54:55], off
	v_addc_co_u32_e32 v71, vcc, v67, v68, vcc
	global_load_dwordx4 v[54:57], v[66:67], off
	global_load_dwordx4 v[58:61], v[90:91], off offset:704
	global_load_dwordx4 v[62:65], v[90:91], off offset:1504
	v_mov_b32_e32 v72, s2
	v_add_co_u32_e32 v82, vcc, s3, v70
	v_addc_co_u32_e32 v83, vcc, v71, v72, vcc
	v_mov_b32_e32 v84, s2
	v_add_co_u32_e32 v92, vcc, s3, v82
	v_addc_co_u32_e32 v93, vcc, v83, v84, vcc
	global_load_dwordx4 v[66:69], v[70:71], off
	s_nop 0
	global_load_dwordx4 v[70:73], v[82:83], off
	global_load_dwordx4 v[74:77], v[90:91], off offset:2304
	global_load_dwordx4 v[78:81], v[90:91], off offset:3104
	s_nop 0
	global_load_dwordx4 v[82:85], v[92:93], off
	global_load_dwordx4 v[86:89], v[90:91], off offset:3904
	v_mov_b32_e32 v90, s2
	v_add_co_u32_e32 v94, vcc, s3, v92
	v_addc_co_u32_e32 v95, vcc, v93, v90, vcc
	s_movk_i32 s8, 0x2000
	v_add_co_u32_e32 v44, vcc, s8, v44
	v_addc_co_u32_e32 v45, vcc, 0, v45, vcc
	v_mov_b32_e32 v96, s2
	v_add_co_u32_e32 v106, vcc, s3, v94
	v_addc_co_u32_e32 v107, vcc, v95, v96, vcc
	v_mov_b32_e32 v108, s2
	v_add_co_u32_e32 v110, vcc, s3, v106
	v_addc_co_u32_e32 v111, vcc, v107, v108, vcc
	global_load_dwordx4 v[90:93], v[94:95], off
	v_mov_b32_e32 v112, s2
	v_add_co_u32_e32 v114, vcc, s3, v110
	global_load_dwordx4 v[94:97], v[106:107], off
	global_load_dwordx4 v[98:101], v[44:45], off offset:608
	global_load_dwordx4 v[102:105], v[44:45], off offset:1408
	v_addc_co_u32_e32 v115, vcc, v111, v112, vcc
	global_load_dwordx4 v[106:109], v[110:111], off
	s_nop 0
	global_load_dwordx4 v[110:113], v[114:115], off
	global_load_dwordx4 v[117:120], v[44:45], off offset:2208
	global_load_dwordx4 v[121:124], v[44:45], off offset:3008
	v_mov_b32_e32 v125, s2
	v_add_co_u32_e32 v114, vcc, s3, v114
	v_addc_co_u32_e32 v115, vcc, v115, v125, vcc
	global_load_dwordx4 v[125:128], v[114:115], off
	global_load_dwordx4 v[129:132], v[44:45], off offset:3808
	s_waitcnt vmcnt(28)
	v_mul_f64 v[114:115], v[6:7], v[14:15]
	v_mul_f64 v[14:15], v[4:5], v[14:15]
	s_waitcnt vmcnt(24)
	v_mul_f64 v[137:138], v[18:19], v[30:31]
	v_mul_f64 v[30:31], v[16:17], v[30:31]
	;; [unrolled: 1-line block ×6, first 2 shown]
	v_fma_f64 v[4:5], v[4:5], v[12:13], v[114:115]
	v_fma_f64 v[6:7], v[6:7], v[12:13], -v[14:15]
	v_fma_f64 v[12:13], v[16:17], v[28:29], v[137:138]
	v_fma_f64 v[14:15], v[18:19], v[28:29], -v[30:31]
	;; [unrolled: 2-line block ×4, first 2 shown]
	s_waitcnt vmcnt(21)
	v_mul_f64 v[16:17], v[34:35], v[42:43]
	v_mul_f64 v[18:19], v[32:33], v[42:43]
	s_waitcnt vmcnt(20)
	v_mul_f64 v[20:21], v[38:39], v[48:49]
	v_mul_f64 v[22:23], v[36:37], v[48:49]
	;; [unrolled: 3-line block ×4, first 2 shown]
	v_fma_f64 v[16:17], v[32:33], v[40:41], v[16:17]
	v_fma_f64 v[18:19], v[34:35], v[40:41], -v[18:19]
	v_fma_f64 v[20:21], v[36:37], v[46:47], v[20:21]
	v_fma_f64 v[22:23], v[38:39], v[46:47], -v[22:23]
	;; [unrolled: 2-line block ×4, first 2 shown]
	ds_write_b128 v133, v[0:3]
	ds_write_b128 v133, v[4:7] offset:800
	ds_write_b128 v133, v[8:11] offset:1600
	ds_write_b128 v133, v[12:15] offset:2400
	ds_write_b128 v133, v[16:19] offset:3200
	ds_write_b128 v133, v[20:23] offset:4000
	ds_write_b128 v133, v[24:27] offset:4800
	ds_write_b128 v133, v[28:31] offset:5600
	s_waitcnt vmcnt(13)
	v_mul_f64 v[0:1], v[68:69], v[76:77]
	v_mul_f64 v[2:3], v[66:67], v[76:77]
	s_waitcnt vmcnt(12)
	v_mul_f64 v[4:5], v[72:73], v[80:81]
	v_mul_f64 v[6:7], v[70:71], v[80:81]
	;; [unrolled: 3-line block ×3, first 2 shown]
	v_fma_f64 v[0:1], v[66:67], v[74:75], v[0:1]
	v_fma_f64 v[2:3], v[68:69], v[74:75], -v[2:3]
	v_fma_f64 v[4:5], v[70:71], v[78:79], v[4:5]
	v_fma_f64 v[6:7], v[72:73], v[78:79], -v[6:7]
	;; [unrolled: 2-line block ×3, first 2 shown]
	s_waitcnt vmcnt(7)
	v_mul_f64 v[12:13], v[92:93], v[100:101]
	v_mul_f64 v[14:15], v[90:91], v[100:101]
	s_waitcnt vmcnt(6)
	v_mul_f64 v[16:17], v[96:97], v[104:105]
	v_mul_f64 v[18:19], v[94:95], v[104:105]
	;; [unrolled: 3-line block ×4, first 2 shown]
	v_fma_f64 v[12:13], v[90:91], v[98:99], v[12:13]
	v_fma_f64 v[14:15], v[92:93], v[98:99], -v[14:15]
	v_fma_f64 v[16:17], v[94:95], v[102:103], v[16:17]
	s_waitcnt vmcnt(0)
	v_mul_f64 v[28:29], v[127:128], v[131:132]
	v_mul_f64 v[30:31], v[125:126], v[131:132]
	v_fma_f64 v[18:19], v[96:97], v[102:103], -v[18:19]
	v_fma_f64 v[20:21], v[106:107], v[117:118], v[20:21]
	v_fma_f64 v[22:23], v[108:109], v[117:118], -v[22:23]
	v_fma_f64 v[24:25], v[110:111], v[121:122], v[24:25]
	v_fma_f64 v[26:27], v[112:113], v[121:122], -v[26:27]
	v_fma_f64 v[28:29], v[125:126], v[129:130], v[28:29]
	v_fma_f64 v[30:31], v[127:128], v[129:130], -v[30:31]
	ds_write_b128 v133, v[0:3] offset:6400
	ds_write_b128 v133, v[4:7] offset:7200
	;; [unrolled: 1-line block ×8, first 2 shown]
.LBB0_3:
	s_or_b64 exec, exec, s[14:15]
	s_load_dwordx2 s[2:3], s[4:5], 0x20
	s_load_dwordx2 s[14:15], s[4:5], 0x8
	s_waitcnt lgkmcnt(0)
	s_barrier
	s_waitcnt lgkmcnt(0)
                                        ; implicit-def: $vgpr0_vgpr1
                                        ; implicit-def: $vgpr20_vgpr21
                                        ; implicit-def: $vgpr32_vgpr33
                                        ; implicit-def: $vgpr52_vgpr53
                                        ; implicit-def: $vgpr60_vgpr61
                                        ; implicit-def: $vgpr48_vgpr49
                                        ; implicit-def: $vgpr56_vgpr57
                                        ; implicit-def: $vgpr36_vgpr37
                                        ; implicit-def: $vgpr44_vgpr45
                                        ; implicit-def: $vgpr40_vgpr41
                                        ; implicit-def: $vgpr28_vgpr29
                                        ; implicit-def: $vgpr16_vgpr17
                                        ; implicit-def: $vgpr24_vgpr25
                                        ; implicit-def: $vgpr8_vgpr9
                                        ; implicit-def: $vgpr12_vgpr13
                                        ; implicit-def: $vgpr4_vgpr5
	s_and_saveexec_b64 s[4:5], s[0:1]
	s_cbranch_execz .LBB0_5
; %bb.4:
	ds_read_b128 v[0:3], v133
	ds_read_b128 v[4:7], v133 offset:800
	ds_read_b128 v[12:15], v133 offset:1600
	;; [unrolled: 1-line block ×15, first 2 shown]
.LBB0_5:
	s_or_b64 exec, exec, s[4:5]
	s_waitcnt lgkmcnt(7)
	v_add_f64 v[40:41], v[0:1], -v[40:41]
	s_waitcnt lgkmcnt(3)
	v_add_f64 v[56:57], v[24:25], -v[56:57]
	v_add_f64 v[44:45], v[12:13], -v[44:45]
	s_waitcnt lgkmcnt(1)
	v_add_f64 v[60:61], v[20:21], -v[60:61]
	v_add_f64 v[42:43], v[2:3], -v[42:43]
	;; [unrolled: 1-line block ×5, first 2 shown]
	v_fma_f64 v[0:1], v[0:1], 2.0, -v[40:41]
	v_fma_f64 v[24:25], v[24:25], 2.0, -v[56:57]
	;; [unrolled: 1-line block ×4, first 2 shown]
	v_add_f64 v[32:33], v[4:5], -v[32:33]
	v_add_f64 v[34:35], v[6:7], -v[34:35]
	;; [unrolled: 1-line block ×4, first 2 shown]
	v_fma_f64 v[2:3], v[2:3], 2.0, -v[42:43]
	v_fma_f64 v[26:27], v[26:27], 2.0, -v[58:59]
	;; [unrolled: 1-line block ×4, first 2 shown]
	v_add_f64 v[36:37], v[8:9], -v[36:37]
	s_waitcnt lgkmcnt(0)
	v_add_f64 v[54:55], v[30:31], -v[54:55]
	v_fma_f64 v[4:5], v[4:5], 2.0, -v[32:33]
	v_fma_f64 v[6:7], v[6:7], 2.0, -v[34:35]
	;; [unrolled: 1-line block ×4, first 2 shown]
	v_add_f64 v[24:25], v[0:1], -v[24:25]
	v_add_f64 v[58:59], v[40:41], -v[58:59]
	v_add_f64 v[56:57], v[42:43], v[56:57]
	v_add_f64 v[20:21], v[12:13], -v[20:21]
	v_add_f64 v[62:63], v[44:45], -v[62:63]
	v_add_f64 v[60:61], v[60:61], v[46:47]
	v_add_f64 v[38:39], v[10:11], -v[38:39]
	v_add_f64 v[52:53], v[28:29], -v[52:53]
	v_fma_f64 v[30:31], v[30:31], 2.0, -v[54:55]
	v_add_f64 v[26:27], v[2:3], -v[26:27]
	v_add_f64 v[22:23], v[14:15], -v[22:23]
	v_fma_f64 v[64:65], v[0:1], 2.0, -v[24:25]
	v_fma_f64 v[40:41], v[40:41], 2.0, -v[58:59]
	;; [unrolled: 1-line block ×6, first 2 shown]
	v_add_f64 v[46:47], v[4:5], -v[16:17]
	v_add_f64 v[68:69], v[6:7], -v[18:19]
	;; [unrolled: 1-line block ×4, first 2 shown]
	s_mov_b32 s4, 0x667f3bcd
	s_mov_b32 s5, 0xbfe6a09e
	v_fma_f64 v[8:9], v[8:9], 2.0, -v[36:37]
	v_fma_f64 v[10:11], v[10:11], 2.0, -v[38:39]
	;; [unrolled: 1-line block ×5, first 2 shown]
	v_add_f64 v[48:49], v[48:49], v[34:35]
	v_add_f64 v[52:53], v[52:53], v[38:39]
	v_fma_f64 v[70:71], v[4:5], 2.0, -v[46:47]
	v_fma_f64 v[72:73], v[6:7], 2.0, -v[68:69]
	;; [unrolled: 1-line block ×4, first 2 shown]
	v_fma_f64 v[4:5], v[12:13], s[4:5], v[40:41]
	v_fma_f64 v[6:7], v[44:45], s[4:5], v[42:43]
	v_add_f64 v[22:23], v[24:25], -v[22:23]
	s_mov_b32 s9, 0x3fe6a09e
	s_mov_b32 s8, s4
	v_add_f64 v[30:31], v[10:11], -v[30:31]
	v_fma_f64 v[34:35], v[34:35], 2.0, -v[48:49]
	v_fma_f64 v[38:39], v[38:39], 2.0, -v[52:53]
	v_fma_f64 v[16:17], v[60:61], s[8:9], v[56:57]
	v_fma_f64 v[44:45], v[44:45], s[4:5], v[4:5]
	;; [unrolled: 1-line block ×3, first 2 shown]
	v_add_f64 v[20:21], v[26:27], v[20:21]
	v_fma_f64 v[6:7], v[24:25], 2.0, -v[22:23]
	v_fma_f64 v[24:25], v[36:37], s[4:5], v[32:33]
	v_add_f64 v[28:29], v[8:9], -v[28:29]
	v_fma_f64 v[76:77], v[10:11], 2.0, -v[30:31]
	v_fma_f64 v[10:11], v[62:63], s[8:9], v[58:59]
	v_fma_f64 v[94:95], v[62:63], s[8:9], v[16:17]
	v_fma_f64 v[4:5], v[40:41], 2.0, -v[44:45]
	v_fma_f64 v[16:17], v[26:27], 2.0, -v[20:21]
	v_fma_f64 v[26:27], v[38:39], s[4:5], v[34:35]
	v_fma_f64 v[40:41], v[54:55], s[8:9], v[50:51]
	;; [unrolled: 1-line block ×4, first 2 shown]
	v_fma_f64 v[74:75], v[8:9], 2.0, -v[28:29]
	v_fma_f64 v[92:93], v[60:61], s[4:5], v[10:11]
	v_add_f64 v[30:31], v[46:47], -v[30:31]
	v_add_f64 v[28:29], v[28:29], v[68:69]
	v_fma_f64 v[26:27], v[36:37], s[8:9], v[26:27]
	v_fma_f64 v[36:37], v[52:53], s[4:5], v[40:41]
	v_fma_f64 v[32:33], v[32:33], 2.0, -v[24:25]
	v_fma_f64 v[38:39], v[54:55], s[8:9], v[38:39]
	s_mov_b32 s10, 0xcf328d46
	s_mov_b32 s11, 0xbfed906b
	v_add_f64 v[0:1], v[64:65], -v[0:1]
	v_fma_f64 v[12:13], v[42:43], 2.0, -v[82:83]
	v_fma_f64 v[10:11], v[58:59], 2.0, -v[92:93]
	;; [unrolled: 1-line block ×7, first 2 shown]
	v_fma_f64 v[54:55], v[32:33], s[10:11], v[4:5]
	v_fma_f64 v[48:49], v[48:49], 2.0, -v[38:39]
	s_mov_b32 s16, 0xa6aea964
	s_mov_b32 s17, 0xbfd87de2
	v_add_f64 v[14:15], v[66:67], -v[2:3]
	v_fma_f64 v[2:3], v[64:65], 2.0, -v[0:1]
	v_add_f64 v[80:81], v[72:73], -v[76:77]
	v_fma_f64 v[56:57], v[34:35], s[10:11], v[12:13]
	v_fma_f64 v[58:59], v[46:47], s[4:5], v[6:7]
	;; [unrolled: 1-line block ×6, first 2 shown]
	s_mov_b32 s19, 0x3fd87de2
	s_mov_b32 s18, s16
	;; [unrolled: 1-line block ×4, first 2 shown]
	v_fma_f64 v[8:9], v[66:67], 2.0, -v[14:15]
	v_add_f64 v[42:43], v[70:71], -v[74:75]
	v_fma_f64 v[60:61], v[72:73], 2.0, -v[80:81]
	v_fma_f64 v[78:79], v[32:33], s[18:19], v[56:57]
	v_fma_f64 v[56:57], v[52:53], s[4:5], v[58:59]
	;; [unrolled: 1-line block ×11, first 2 shown]
	v_fma_f64 v[40:41], v[70:71], 2.0, -v[42:43]
	v_add_f64 v[90:91], v[8:9], -v[60:61]
	v_fma_f64 v[60:61], v[26:27], s[10:11], v[32:33]
	v_fma_f64 v[62:63], v[24:25], s[20:21], v[34:35]
	;; [unrolled: 1-line block ×6, first 2 shown]
	v_add_f64 v[88:89], v[2:3], -v[40:41]
	v_add_f64 v[68:69], v[0:1], -v[80:81]
	v_add_f64 v[70:71], v[14:15], v[42:43]
	v_fma_f64 v[80:81], v[44:45], 2.0, -v[60:61]
	v_fma_f64 v[82:83], v[82:83], 2.0, -v[62:63]
	;; [unrolled: 1-line block ×6, first 2 shown]
	v_lshlrev_b16_e32 v135, 4, v134
	s_barrier
	s_and_saveexec_b64 s[4:5], s[0:1]
	s_cbranch_execz .LBB0_7
; %bb.6:
	v_fma_f64 v[30:31], v[8:9], 2.0, -v[90:91]
	v_fma_f64 v[28:29], v[2:3], 2.0, -v[88:89]
	;; [unrolled: 1-line block ×10, first 2 shown]
	v_lshlrev_b32_e32 v0, 4, v135
	ds_write_b128 v0, v[28:31]
	ds_write_b128 v0, v[24:27] offset:16
	ds_write_b128 v0, v[20:23] offset:32
	;; [unrolled: 1-line block ×15, first 2 shown]
.LBB0_7:
	s_or_b64 exec, exec, s[4:5]
	v_and_b32_e32 v117, 15, v134
	v_lshlrev_b32_e32 v0, 6, v117
	s_load_dwordx4 s[8:11], s[2:3], 0x0
	s_waitcnt lgkmcnt(0)
	s_barrier
	global_load_dwordx4 v[16:19], v0, s[14:15]
	global_load_dwordx4 v[12:15], v0, s[14:15] offset:16
	global_load_dwordx4 v[8:11], v0, s[14:15] offset:32
	;; [unrolled: 1-line block ×3, first 2 shown]
	ds_read_b128 v[0:3], v133
	ds_read_b128 v[20:23], v133 offset:2560
	ds_read_b128 v[24:27], v133 offset:5120
	;; [unrolled: 1-line block ×4, first 2 shown]
	v_lshrrev_b32_e32 v96, 4, v134
	v_mul_u32_u24_e32 v118, 0x50, v96
	s_mov_b32 s4, 0x134454ff
	s_mov_b32 s5, 0x3fee6f0e
	;; [unrolled: 1-line block ×10, first 2 shown]
	s_movk_i32 s2, 0x50
	v_cmp_gt_u16_e64 s[2:3], s2, v134
	s_waitcnt vmcnt(0) lgkmcnt(0)
	s_barrier
	v_mul_f64 v[36:37], v[22:23], v[18:19]
	v_mul_f64 v[38:39], v[20:21], v[18:19]
	;; [unrolled: 1-line block ×8, first 2 shown]
	v_fma_f64 v[20:21], v[20:21], v[16:17], -v[36:37]
	v_fma_f64 v[22:23], v[22:23], v[16:17], v[38:39]
	v_fma_f64 v[24:25], v[24:25], v[12:13], -v[40:41]
	v_fma_f64 v[26:27], v[26:27], v[12:13], v[42:43]
	;; [unrolled: 2-line block ×3, first 2 shown]
	v_fma_f64 v[30:31], v[30:31], v[8:9], v[48:49]
	v_fma_f64 v[32:33], v[32:33], v[4:5], -v[50:51]
	v_add_f64 v[36:37], v[0:1], v[20:21]
	v_add_f64 v[98:99], v[2:3], v[22:23]
	v_add_f64 v[44:45], v[20:21], -v[24:25]
	v_add_f64 v[50:51], v[24:25], -v[20:21]
	v_add_f64 v[38:39], v[24:25], v[28:29]
	v_add_f64 v[108:109], v[22:23], v[34:35]
	;; [unrolled: 1-line block ×3, first 2 shown]
	v_add_f64 v[46:47], v[32:33], -v[28:29]
	v_add_f64 v[48:49], v[20:21], v[32:33]
	v_add_f64 v[40:41], v[22:23], -v[34:35]
	v_add_f64 v[42:43], v[26:27], -v[30:31]
	;; [unrolled: 1-line block ×7, first 2 shown]
	v_add_f64 v[24:25], v[36:37], v[24:25]
	v_fma_f64 v[36:37], v[38:39], -0.5, v[0:1]
	v_add_f64 v[38:39], v[44:45], v[46:47]
	v_fma_f64 v[0:1], v[48:49], -0.5, v[0:1]
	;; [unrolled: 2-line block ×3, first 2 shown]
	v_fma_f64 v[2:3], v[108:109], -0.5, v[2:3]
	v_add_f64 v[106:107], v[34:35], -v[30:31]
	v_add_f64 v[110:111], v[30:31], -v[34:35]
	v_add_f64 v[44:45], v[50:51], v[96:97]
	v_add_f64 v[24:25], v[24:25], v[28:29]
	v_fma_f64 v[28:29], v[40:41], s[4:5], v[36:37]
	v_fma_f64 v[36:37], v[40:41], s[20:21], v[36:37]
	;; [unrolled: 1-line block ×4, first 2 shown]
	v_add_f64 v[26:27], v[26:27], v[30:31]
	v_fma_f64 v[30:31], v[20:21], s[20:21], v[46:47]
	v_fma_f64 v[46:47], v[20:21], s[4:5], v[46:47]
	;; [unrolled: 1-line block ×4, first 2 shown]
	v_add_f64 v[48:49], v[104:105], v[106:107]
	v_add_f64 v[22:23], v[22:23], v[110:111]
	;; [unrolled: 1-line block ×3, first 2 shown]
	v_fma_f64 v[24:25], v[42:43], s[16:17], v[28:29]
	v_fma_f64 v[28:29], v[42:43], s[22:23], v[36:37]
	;; [unrolled: 1-line block ×4, first 2 shown]
	v_add_f64 v[98:99], v[26:27], v[34:35]
	v_fma_f64 v[26:27], v[102:103], s[22:23], v[30:31]
	v_fma_f64 v[30:31], v[20:21], s[22:23], v[100:101]
	;; [unrolled: 1-line block ×12, first 2 shown]
	v_or_b32_e32 v0, v118, v117
	v_lshlrev_b32_e32 v136, 4, v0
	ds_write_b128 v136, v[96:99]
	ds_write_b128 v136, v[100:103] offset:256
	ds_write_b128 v136, v[104:107] offset:512
	;; [unrolled: 1-line block ×4, first 2 shown]
	s_waitcnt lgkmcnt(0)
	s_barrier
	s_and_saveexec_b64 s[24:25], s[2:3]
	s_cbranch_execz .LBB0_9
; %bb.8:
	ds_read_b128 v[96:99], v133
	ds_read_b128 v[100:103], v133 offset:1280
	ds_read_b128 v[104:107], v133 offset:2560
	;; [unrolled: 1-line block ×9, first 2 shown]
.LBB0_9:
	s_or_b64 exec, exec, s[24:25]
	v_add_u32_e32 v0, 0xffffffb0, v134
	v_cndmask_b32_e64 v0, v0, v134, s[2:3]
	v_mul_hi_i32_i24_e32 v1, 0x90, v0
	v_mul_i32_i24_e32 v0, 0x90, v0
	v_mov_b32_e32 v2, s15
	v_add_co_u32_e32 v117, vcc, s14, v0
	v_addc_co_u32_e32 v118, vcc, v2, v1, vcc
	global_load_dwordx4 v[0:3], v[117:118], off offset:1024
	global_load_dwordx4 v[36:39], v[117:118], off offset:1040
	;; [unrolled: 1-line block ×9, first 2 shown]
	s_mov_b32 s14, 0x9b97f4a8
	s_mov_b32 s15, 0x3fe9e377
	s_waitcnt vmcnt(8) lgkmcnt(8)
	v_mul_f64 v[117:118], v[102:103], v[2:3]
	s_waitcnt vmcnt(7) lgkmcnt(7)
	v_mul_f64 v[121:122], v[106:107], v[38:39]
	v_mul_f64 v[123:124], v[104:105], v[38:39]
	s_waitcnt vmcnt(5) lgkmcnt(5)
	v_mul_f64 v[129:130], v[114:115], v[26:27]
	;; [unrolled: 3-line block ×4, first 2 shown]
	v_mul_f64 v[151:152], v[88:89], v[50:51]
	v_mul_f64 v[119:120], v[100:101], v[2:3]
	v_mul_f64 v[125:126], v[110:111], v[22:23]
	v_mul_f64 v[137:138], v[82:83], v[34:35]
	v_mul_f64 v[139:140], v[80:81], v[34:35]
	v_mul_f64 v[145:146], v[94:95], v[30:31]
	v_fma_f64 v[104:105], v[104:105], v[36:37], -v[121:122]
	v_fma_f64 v[106:107], v[106:107], v[36:37], v[123:124]
	v_fma_f64 v[112:113], v[112:113], v[24:25], -v[129:130]
	v_fma_f64 v[114:115], v[114:115], v[24:25], v[131:132]
	;; [unrolled: 2-line block ×3, first 2 shown]
	v_fma_f64 v[90:91], v[90:91], v[48:49], v[151:152]
	v_fma_f64 v[88:89], v[88:89], v[48:49], -v[149:150]
	v_mul_f64 v[127:128], v[108:109], v[22:23]
	v_mul_f64 v[147:148], v[92:93], v[30:31]
	s_waitcnt vmcnt(0) lgkmcnt(0)
	v_mul_f64 v[153:154], v[78:79], v[46:47]
	v_mul_f64 v[155:156], v[76:77], v[46:47]
	v_fma_f64 v[100:101], v[100:101], v[0:1], -v[117:118]
	v_fma_f64 v[102:103], v[102:103], v[0:1], v[119:120]
	v_fma_f64 v[108:109], v[108:109], v[20:21], -v[125:126]
	v_fma_f64 v[80:81], v[80:81], v[32:33], -v[137:138]
	v_fma_f64 v[82:83], v[82:83], v[32:33], v[139:140]
	v_fma_f64 v[92:93], v[92:93], v[28:29], -v[145:146]
	v_add_f64 v[117:118], v[96:97], v[104:105]
	v_add_f64 v[119:120], v[112:113], v[84:85]
	;; [unrolled: 1-line block ×6, first 2 shown]
	v_fma_f64 v[110:111], v[110:111], v[20:21], v[127:128]
	v_fma_f64 v[94:95], v[94:95], v[28:29], v[147:148]
	v_fma_f64 v[76:77], v[76:77], v[44:45], -v[153:154]
	v_fma_f64 v[78:79], v[78:79], v[44:45], v[155:156]
	v_add_f64 v[121:122], v[106:107], -v[90:91]
	v_add_f64 v[123:124], v[114:115], -v[86:87]
	;; [unrolled: 1-line block ×11, first 2 shown]
	v_add_f64 v[153:154], v[100:101], v[108:109]
	v_add_f64 v[155:156], v[80:81], v[92:93]
	v_fma_f64 v[119:120], v[119:120], -0.5, v[96:97]
	v_fma_f64 v[96:97], v[129:130], -0.5, v[96:97]
	;; [unrolled: 1-line block ×4, first 2 shown]
	v_add_f64 v[112:113], v[117:118], v[112:113]
	v_add_f64 v[114:115], v[139:140], v[114:115]
	v_add_f64 v[151:152], v[86:87], -v[90:91]
	v_add_f64 v[157:158], v[110:111], -v[78:79]
	v_add_f64 v[167:168], v[82:83], v[94:95]
	v_add_f64 v[117:118], v[125:126], v[127:128]
	;; [unrolled: 1-line block ×5, first 2 shown]
	v_fma_f64 v[137:138], v[155:156], -0.5, v[100:101]
	v_add_f64 v[84:85], v[112:113], v[84:85]
	v_fma_f64 v[112:113], v[121:122], s[4:5], v[119:120]
	v_fma_f64 v[119:120], v[121:122], s[20:21], v[119:120]
	;; [unrolled: 1-line block ×4, first 2 shown]
	v_add_f64 v[86:87], v[114:115], v[86:87]
	v_fma_f64 v[114:115], v[104:105], s[20:21], v[129:130]
	v_fma_f64 v[129:130], v[104:105], s[4:5], v[129:130]
	;; [unrolled: 1-line block ×4, first 2 shown]
	v_add_f64 v[159:160], v[82:83], -v[94:95]
	v_add_f64 v[165:166], v[108:109], v[76:77]
	v_add_f64 v[169:170], v[108:109], -v[76:77]
	v_add_f64 v[171:172], v[110:111], v[78:79]
	v_add_f64 v[106:107], v[106:107], v[151:152]
	v_fma_f64 v[141:142], v[167:168], -0.5, v[102:103]
	v_add_f64 v[131:132], v[131:132], v[92:93]
	v_fma_f64 v[149:150], v[157:158], s[4:5], v[137:138]
	v_fma_f64 v[137:138], v[157:158], s[20:21], v[137:138]
	v_add_f64 v[153:154], v[84:85], v[88:89]
	v_fma_f64 v[84:85], v[123:124], s[16:17], v[112:113]
	v_fma_f64 v[88:89], v[123:124], s[22:23], v[119:120]
	;; [unrolled: 1-line block ×4, first 2 shown]
	v_add_f64 v[119:120], v[86:87], v[90:91]
	v_fma_f64 v[86:87], v[143:144], s[22:23], v[114:115]
	v_fma_f64 v[90:91], v[143:144], s[16:17], v[129:130]
	;; [unrolled: 1-line block ×3, first 2 shown]
	v_add_f64 v[163:164], v[76:77], -v[92:93]
	v_fma_f64 v[100:101], v[165:166], -0.5, v[100:101]
	v_fma_f64 v[114:115], v[104:105], s[22:23], v[147:148]
	v_add_f64 v[104:105], v[131:132], v[76:77]
	v_fma_f64 v[123:124], v[159:160], s[22:23], v[137:138]
	v_fma_f64 v[131:132], v[117:118], s[18:19], v[84:85]
	;; [unrolled: 1-line block ×8, first 2 shown]
	v_add_f64 v[86:87], v[102:103], v[110:111]
	v_add_f64 v[88:89], v[80:81], -v[92:93]
	v_fma_f64 v[90:91], v[171:172], -0.5, v[102:103]
	v_add_f64 v[76:77], v[92:93], -v[76:77]
	v_fma_f64 v[92:93], v[169:170], s[20:21], v[141:142]
	v_add_f64 v[96:97], v[110:111], -v[82:83]
	v_add_f64 v[98:99], v[78:79], -v[94:95]
	;; [unrolled: 1-line block ×3, first 2 shown]
	v_fma_f64 v[151:152], v[159:160], s[20:21], v[100:101]
	v_fma_f64 v[114:115], v[106:107], s[18:19], v[114:115]
	v_add_f64 v[80:81], v[80:81], -v[108:109]
	v_fma_f64 v[100:101], v[159:160], s[4:5], v[100:101]
	v_add_f64 v[86:87], v[86:87], v[82:83]
	v_fma_f64 v[102:103], v[88:89], s[4:5], v[90:91]
	v_add_f64 v[82:83], v[82:83], -v[110:111]
	v_add_f64 v[106:107], v[94:95], -v[78:79]
	v_fma_f64 v[92:93], v[88:89], s[22:23], v[92:93]
	v_fma_f64 v[108:109], v[169:170], s[4:5], v[141:142]
	v_add_f64 v[96:97], v[96:97], v[98:99]
	v_fma_f64 v[90:91], v[88:89], s[20:21], v[90:91]
	v_add_f64 v[139:140], v[161:162], v[163:164]
	v_fma_f64 v[121:122], v[159:160], s[16:17], v[149:150]
	v_fma_f64 v[129:130], v[157:158], s[16:17], v[151:152]
	v_add_f64 v[76:77], v[80:81], v[76:77]
	v_fma_f64 v[80:81], v[157:158], s[22:23], v[100:101]
	v_fma_f64 v[98:99], v[169:170], s[22:23], v[102:103]
	v_add_f64 v[82:83], v[82:83], v[106:107]
	v_add_f64 v[86:87], v[86:87], v[94:95]
	v_fma_f64 v[88:89], v[88:89], s[16:17], v[108:109]
	v_fma_f64 v[92:93], v[96:97], s[18:19], v[92:93]
	;; [unrolled: 1-line block ×8, first 2 shown]
	v_add_f64 v[106:107], v[86:87], v[78:79]
	v_fma_f64 v[78:79], v[96:97], s[18:19], v[88:89]
	v_mul_f64 v[80:81], v[92:93], s[16:17]
	v_fma_f64 v[82:83], v[82:83], s[18:19], v[90:91]
	v_mul_f64 v[90:91], v[94:95], s[14:15]
	v_mul_f64 v[96:97], v[100:101], s[20:21]
	;; [unrolled: 1-line block ×4, first 2 shown]
	v_add_f64 v[76:77], v[153:154], v[104:105]
	v_mul_f64 v[121:122], v[78:79], s[14:15]
	v_fma_f64 v[108:109], v[84:85], s[14:15], v[80:81]
	v_mul_f64 v[84:85], v[84:85], s[22:23]
	v_mul_f64 v[110:111], v[82:83], s[18:19]
	v_fma_f64 v[129:130], v[78:79], s[16:17], -v[90:91]
	v_fma_f64 v[123:124], v[82:83], s[4:5], -v[88:89]
	v_fma_f64 v[100:101], v[100:101], s[18:19], v[86:87]
	v_fma_f64 v[141:142], v[98:99], s[18:19], v[96:97]
	v_fma_f64 v[121:122], v[94:95], s[22:23], -v[121:122]
	v_add_f64 v[80:81], v[131:132], v[108:109]
	v_fma_f64 v[139:140], v[92:93], s[14:15], v[84:85]
	v_fma_f64 v[110:111], v[102:103], s[20:21], -v[110:111]
	v_add_f64 v[96:97], v[117:118], v[129:130]
	v_add_f64 v[84:85], v[125:126], v[123:124]
	;; [unrolled: 1-line block ×8, first 2 shown]
	v_add_f64 v[92:93], v[153:154], -v[104:105]
	v_add_f64 v[104:105], v[131:132], -v[108:109]
	;; [unrolled: 1-line block ×10, first 2 shown]
	s_and_saveexec_b64 s[4:5], s[2:3]
	s_cbranch_execz .LBB0_11
; %bb.10:
	ds_write_b128 v133, v[76:79]
	ds_write_b128 v133, v[80:83] offset:1280
	ds_write_b128 v133, v[88:91] offset:2560
	;; [unrolled: 1-line block ×9, first 2 shown]
.LBB0_11:
	s_or_b64 exec, exec, s[4:5]
	s_waitcnt lgkmcnt(0)
	s_barrier
	s_and_saveexec_b64 s[14:15], s[0:1]
	s_cbranch_execz .LBB0_13
; %bb.12:
	v_mov_b32_e32 v117, s13
	v_add_co_u32_e32 v181, vcc, s12, v133
	v_addc_co_u32_e32 v182, vcc, 0, v117, vcc
	v_add_co_u32_e32 v157, vcc, 0x3200, v181
	v_addc_co_u32_e32 v158, vcc, 0, v182, vcc
	global_load_dwordx4 v[117:120], v[157:158], off offset:800
	global_load_dwordx4 v[121:124], v[157:158], off offset:1600
	;; [unrolled: 1-line block ×4, first 2 shown]
	s_movk_i32 s4, 0x4000
	v_add_co_u32_e64 v149, s[4:5], s4, v181
	v_add_co_u32_e32 v153, vcc, 0x3000, v181
	v_addc_co_u32_e64 v150, s[4:5], 0, v182, s[4:5]
	global_load_dwordx4 v[137:140], v[149:150], off offset:1216
	global_load_dwordx4 v[141:144], v[149:150], off offset:2016
	;; [unrolled: 1-line block ×3, first 2 shown]
	v_addc_co_u32_e32 v154, vcc, 0, v182, vcc
	global_load_dwordx4 v[149:152], v[149:150], off offset:3616
	s_nop 0
	global_load_dwordx4 v[153:156], v[153:154], off offset:512
	s_nop 0
	global_load_dwordx4 v[157:160], v[157:158], off offset:4000
	s_movk_i32 s4, 0x5000
	v_add_co_u32_e32 v177, vcc, s4, v181
	v_addc_co_u32_e32 v178, vcc, 0, v182, vcc
	global_load_dwordx4 v[161:164], v[177:178], off offset:320
	global_load_dwordx4 v[165:168], v[177:178], off offset:1120
	;; [unrolled: 1-line block ×3, first 2 shown]
	s_movk_i32 s4, 0x6000
	v_add_co_u32_e32 v181, vcc, s4, v181
	global_load_dwordx4 v[173:176], v[177:178], off offset:2720
	s_nop 0
	global_load_dwordx4 v[177:180], v[177:178], off offset:3520
	v_addc_co_u32_e32 v182, vcc, 0, v182, vcc
	global_load_dwordx4 v[181:184], v[181:182], off offset:224
	ds_read_b128 v[185:188], v133
	ds_read_b128 v[189:192], v133 offset:800
	ds_read_b128 v[193:196], v133 offset:1600
	;; [unrolled: 1-line block ×11, first 2 shown]
	s_waitcnt vmcnt(15) lgkmcnt(10)
	v_mul_f64 v[233:234], v[191:192], v[119:120]
	v_mul_f64 v[119:120], v[189:190], v[119:120]
	s_waitcnt vmcnt(14) lgkmcnt(9)
	v_mul_f64 v[235:236], v[195:196], v[123:124]
	v_mul_f64 v[123:124], v[193:194], v[123:124]
	;; [unrolled: 3-line block ×4, first 2 shown]
	v_fma_f64 v[189:190], v[189:190], v[117:118], -v[233:234]
	s_waitcnt vmcnt(11) lgkmcnt(5)
	v_mul_f64 v[241:242], v[211:212], v[139:140]
	v_mul_f64 v[139:140], v[209:210], v[139:140]
	s_waitcnt vmcnt(10) lgkmcnt(4)
	v_mul_f64 v[243:244], v[215:216], v[143:144]
	v_mul_f64 v[143:144], v[213:214], v[143:144]
	s_waitcnt vmcnt(7)
	v_mul_f64 v[249:250], v[187:188], v[155:156]
	v_mul_f64 v[155:156], v[185:186], v[155:156]
	s_waitcnt vmcnt(6)
	v_mul_f64 v[251:252], v[207:208], v[159:160]
	v_mul_f64 v[159:160], v[205:206], v[159:160]
	v_fma_f64 v[191:192], v[191:192], v[117:118], v[119:120]
	v_fma_f64 v[117:118], v[193:194], v[121:122], -v[235:236]
	v_fma_f64 v[119:120], v[195:196], v[121:122], v[123:124]
	v_fma_f64 v[121:122], v[197:198], v[125:126], -v[237:238]
	;; [unrolled: 2-line block ×6, first 2 shown]
	v_fma_f64 v[143:144], v[187:188], v[153:154], v[155:156]
	s_waitcnt lgkmcnt(3)
	v_mul_f64 v[245:246], v[219:220], v[147:148]
	v_mul_f64 v[147:148], v[217:218], v[147:148]
	v_fma_f64 v[153:154], v[205:206], v[157:158], -v[251:252]
	v_fma_f64 v[155:156], v[207:208], v[157:158], v[159:160]
	s_waitcnt lgkmcnt(2)
	v_mul_f64 v[247:248], v[223:224], v[151:152]
	ds_write_b128 v133, v[189:192] offset:800
	ds_write_b128 v133, v[117:120] offset:1600
	;; [unrolled: 1-line block ×6, first 2 shown]
	ds_write_b128 v133, v[141:144]
	ds_write_b128 v133, v[153:156] offset:4000
	v_mul_f64 v[123:124], v[221:222], v[151:152]
	s_waitcnt vmcnt(5) lgkmcnt(9)
	v_mul_f64 v[125:126], v[227:228], v[163:164]
	v_mul_f64 v[127:128], v[225:226], v[163:164]
	s_waitcnt vmcnt(4) lgkmcnt(8)
	v_mul_f64 v[137:138], v[231:232], v[167:168]
	v_mul_f64 v[139:140], v[229:230], v[167:168]
	ds_read_b128 v[129:132], v133 offset:9600
	ds_read_b128 v[141:144], v133 offset:10400
	v_fma_f64 v[117:118], v[217:218], v[145:146], -v[245:246]
	v_fma_f64 v[119:120], v[219:220], v[145:146], v[147:148]
	ds_read_b128 v[145:148], v133 offset:11200
	v_fma_f64 v[121:122], v[221:222], v[149:150], -v[247:248]
	v_fma_f64 v[123:124], v[223:224], v[149:150], v[123:124]
	ds_read_b128 v[149:152], v133 offset:12000
	s_waitcnt vmcnt(3) lgkmcnt(3)
	v_mul_f64 v[153:154], v[131:132], v[171:172]
	v_mul_f64 v[155:156], v[129:130], v[171:172]
	s_waitcnt vmcnt(2) lgkmcnt(2)
	v_mul_f64 v[157:158], v[143:144], v[175:176]
	v_mul_f64 v[159:160], v[141:142], v[175:176]
	v_fma_f64 v[125:126], v[225:226], v[161:162], -v[125:126]
	v_fma_f64 v[127:128], v[227:228], v[161:162], v[127:128]
	s_waitcnt vmcnt(1) lgkmcnt(1)
	v_mul_f64 v[161:162], v[147:148], v[179:180]
	v_mul_f64 v[163:164], v[145:146], v[179:180]
	v_fma_f64 v[137:138], v[229:230], v[165:166], -v[137:138]
	v_fma_f64 v[139:140], v[231:232], v[165:166], v[139:140]
	;; [unrolled: 5-line block ×3, first 2 shown]
	v_fma_f64 v[141:142], v[141:142], v[173:174], -v[157:158]
	v_fma_f64 v[143:144], v[143:144], v[173:174], v[159:160]
	v_fma_f64 v[145:146], v[145:146], v[177:178], -v[161:162]
	v_fma_f64 v[147:148], v[147:148], v[177:178], v[163:164]
	;; [unrolled: 2-line block ×3, first 2 shown]
	ds_write_b128 v133, v[117:120] offset:6400
	ds_write_b128 v133, v[121:124] offset:7200
	;; [unrolled: 1-line block ×8, first 2 shown]
.LBB0_13:
	s_or_b64 exec, exec, s[14:15]
	s_waitcnt lgkmcnt(0)
	s_barrier
	s_and_saveexec_b64 s[4:5], s[0:1]
	s_cbranch_execz .LBB0_15
; %bb.14:
	ds_read_b128 v[76:79], v133
	ds_read_b128 v[80:83], v133 offset:800
	ds_read_b128 v[88:91], v133 offset:1600
	;; [unrolled: 1-line block ×15, first 2 shown]
.LBB0_15:
	s_or_b64 exec, exec, s[4:5]
	s_waitcnt lgkmcnt(7)
	v_add_f64 v[114:115], v[78:79], -v[114:115]
	s_waitcnt lgkmcnt(3)
	v_add_f64 v[70:71], v[98:99], -v[70:71]
	v_add_f64 v[112:113], v[76:77], -v[112:113]
	;; [unrolled: 1-line block ×5, first 2 shown]
	s_waitcnt lgkmcnt(1)
	v_add_f64 v[72:73], v[104:105], -v[72:73]
	v_add_f64 v[74:75], v[106:107], -v[74:75]
	v_fma_f64 v[78:79], v[78:79], 2.0, -v[114:115]
	v_fma_f64 v[98:99], v[98:99], 2.0, -v[70:71]
	v_add_f64 v[117:118], v[80:81], -v[108:109]
	v_add_f64 v[60:61], v[92:93], -v[60:61]
	v_fma_f64 v[76:77], v[76:77], 2.0, -v[112:113]
	v_fma_f64 v[96:97], v[96:97], 2.0, -v[68:69]
	;; [unrolled: 4-line block ×3, first 2 shown]
	v_fma_f64 v[104:105], v[104:105], 2.0, -v[72:73]
	v_fma_f64 v[106:107], v[106:107], 2.0, -v[74:75]
	;; [unrolled: 1-line block ×4, first 2 shown]
	v_add_f64 v[52:53], v[84:85], -v[52:53]
	v_add_f64 v[54:55], v[86:87], -v[54:55]
	s_waitcnt lgkmcnt(0)
	v_add_f64 v[64:65], v[100:101], -v[64:65]
	v_add_f64 v[66:67], v[102:103], -v[66:67]
	;; [unrolled: 1-line block ×3, first 2 shown]
	v_add_f64 v[90:91], v[112:113], v[70:71]
	v_add_f64 v[98:99], v[114:115], -v[68:69]
	v_add_f64 v[74:75], v[74:75], v[56:57]
	v_add_f64 v[72:73], v[58:59], -v[72:73]
	v_fma_f64 v[82:83], v[82:83], 2.0, -v[110:111]
	v_fma_f64 v[123:124], v[94:95], 2.0, -v[62:63]
	v_add_f64 v[88:89], v[76:77], -v[96:97]
	v_fma_f64 v[68:69], v[84:85], 2.0, -v[52:53]
	v_fma_f64 v[70:71], v[86:87], 2.0, -v[54:55]
	;; [unrolled: 1-line block ×6, first 2 shown]
	v_add_f64 v[125:126], v[119:120], -v[104:105]
	v_add_f64 v[127:128], v[121:122], -v[106:107]
	;; [unrolled: 1-line block ×3, first 2 shown]
	v_add_f64 v[106:107], v[62:63], v[117:118]
	v_add_f64 v[108:109], v[110:111], -v[60:61]
	v_fma_f64 v[56:57], v[56:57], 2.0, -v[74:75]
	v_fma_f64 v[58:59], v[58:59], 2.0, -v[72:73]
	v_add_f64 v[66:67], v[66:67], v[52:53]
	v_add_f64 v[64:65], v[54:55], -v[64:65]
	s_mov_b32 s14, 0x667f3bcd
	s_mov_b32 s15, 0xbfe6a09e
	v_fma_f64 v[76:77], v[76:77], 2.0, -v[88:89]
	v_fma_f64 v[78:79], v[78:79], 2.0, -v[92:93]
	v_add_f64 v[96:97], v[82:83], -v[123:124]
	v_fma_f64 v[60:61], v[119:120], 2.0, -v[125:126]
	v_fma_f64 v[62:63], v[121:122], 2.0, -v[127:128]
	;; [unrolled: 1-line block ×4, first 2 shown]
	v_add_f64 v[131:132], v[68:69], -v[84:85]
	v_add_f64 v[137:138], v[70:71], -v[86:87]
	v_fma_f64 v[100:101], v[56:57], s[14:15], v[112:113]
	v_fma_f64 v[102:103], v[58:59], s[14:15], v[114:115]
	v_fma_f64 v[52:53], v[52:53], 2.0, -v[66:67]
	v_fma_f64 v[54:55], v[54:55], 2.0, -v[64:65]
	s_mov_b32 s17, 0x3fe6a09e
	s_mov_b32 s16, s14
	v_fma_f64 v[80:81], v[80:81], 2.0, -v[94:95]
	v_fma_f64 v[82:83], v[82:83], 2.0, -v[96:97]
	v_add_f64 v[84:85], v[76:77], -v[60:61]
	v_add_f64 v[86:87], v[78:79], -v[62:63]
	v_fma_f64 v[58:59], v[58:59], s[16:17], v[100:101]
	v_fma_f64 v[56:57], v[56:57], s[14:15], v[102:103]
	v_fma_f64 v[60:61], v[68:69], 2.0, -v[131:132]
	v_fma_f64 v[62:63], v[70:71], 2.0, -v[137:138]
	v_fma_f64 v[68:69], v[52:53], s[14:15], v[123:124]
	v_fma_f64 v[70:71], v[54:55], s[14:15], v[129:130]
	v_fma_f64 v[100:101], v[76:77], 2.0, -v[84:85]
	v_fma_f64 v[102:103], v[78:79], 2.0, -v[86:87]
	;; [unrolled: 1-line block ×4, first 2 shown]
	v_fma_f64 v[76:77], v[74:75], s[16:17], v[90:91]
	v_fma_f64 v[78:79], v[72:73], s[16:17], v[98:99]
	v_add_f64 v[112:113], v[80:81], -v[60:61]
	v_add_f64 v[114:115], v[82:83], -v[62:63]
	v_fma_f64 v[54:55], v[54:55], s[16:17], v[68:69]
	v_fma_f64 v[52:53], v[52:53], s[14:15], v[70:71]
	;; [unrolled: 1-line block ×4, first 2 shown]
	v_add_f64 v[117:118], v[88:89], v[127:128]
	v_add_f64 v[121:122], v[92:93], -v[125:126]
	v_fma_f64 v[119:120], v[72:73], s[16:17], v[76:77]
	v_fma_f64 v[127:128], v[74:75], s[14:15], v[78:79]
	v_fma_f64 v[68:69], v[80:81], 2.0, -v[112:113]
	v_fma_f64 v[70:71], v[82:83], 2.0, -v[114:115]
	;; [unrolled: 1-line block ×4, first 2 shown]
	v_add_f64 v[123:124], v[137:138], v[94:95]
	v_add_f64 v[125:126], v[96:97], -v[131:132]
	v_fma_f64 v[129:130], v[64:65], s[16:17], v[60:61]
	v_fma_f64 v[131:132], v[66:67], s[14:15], v[62:63]
	s_mov_b32 s18, 0xcf328d46
	s_mov_b32 s4, 0xa6aea964
	;; [unrolled: 1-line block ×6, first 2 shown]
	v_add_f64 v[64:65], v[100:101], -v[68:69]
	v_add_f64 v[66:67], v[102:103], -v[70:71]
	v_fma_f64 v[68:69], v[54:55], s[4:5], v[58:59]
	v_fma_f64 v[70:71], v[52:53], s[4:5], v[56:57]
	;; [unrolled: 1-line block ×6, first 2 shown]
	s_mov_b32 s23, 0xbfd87de2
	s_mov_b32 s22, s4
	v_fma_f64 v[60:61], v[139:140], s[18:19], v[104:105]
	v_fma_f64 v[62:63], v[141:142], s[18:19], v[110:111]
	;; [unrolled: 1-line block ×10, first 2 shown]
	v_fma_f64 v[52:53], v[58:59], 2.0, -v[80:81]
	v_fma_f64 v[54:55], v[56:57], 2.0, -v[82:83]
	;; [unrolled: 1-line block ×6, first 2 shown]
	s_barrier
	s_and_saveexec_b64 s[4:5], s[0:1]
	s_cbranch_execz .LBB0_17
; %bb.16:
	v_fma_f64 v[127:128], v[98:99], 2.0, -v[127:128]
	v_fma_f64 v[131:132], v[108:109], 2.0, -v[131:132]
	v_fma_f64 v[121:122], v[92:93], 2.0, -v[121:122]
	v_fma_f64 v[92:93], v[96:97], 2.0, -v[125:126]
	v_fma_f64 v[96:97], v[94:95], 2.0, -v[123:124]
	v_fma_f64 v[117:118], v[88:89], 2.0, -v[117:118]
	v_fma_f64 v[98:99], v[106:107], 2.0, -v[129:130]
	v_fma_f64 v[123:124], v[90:91], 2.0, -v[119:120]
	v_add_f64 v[90:91], v[86:87], -v[112:113]
	v_fma_f64 v[106:107], v[131:132], s[22:23], v[127:128]
	v_add_f64 v[88:89], v[84:85], v[114:115]
	v_fma_f64 v[108:109], v[92:93], s[14:15], v[121:122]
	v_fma_f64 v[102:103], v[102:103], 2.0, -v[66:67]
	v_fma_f64 v[119:120], v[96:97], s[14:15], v[117:118]
	v_fma_f64 v[100:101], v[100:101], 2.0, -v[64:65]
	;; [unrolled: 2-line block ×6, first 2 shown]
	v_fma_f64 v[96:97], v[131:132], s[20:21], v[125:126]
	v_lshlrev_b32_e32 v104, 4, v135
	v_fma_f64 v[112:113], v[127:128], 2.0, -v[98:99]
	v_fma_f64 v[119:120], v[121:122], 2.0, -v[108:109]
	;; [unrolled: 1-line block ×4, first 2 shown]
	ds_write_b128 v104, v[100:103]
	ds_write_b128 v104, v[92:95] offset:16
	ds_write_b128 v104, v[117:120] offset:32
	;; [unrolled: 1-line block ×15, first 2 shown]
.LBB0_17:
	s_or_b64 exec, exec, s[4:5]
	s_waitcnt lgkmcnt(0)
	s_barrier
	ds_read_b128 v[72:75], v133 offset:5120
	ds_read_b128 v[76:79], v133 offset:7680
	;; [unrolled: 1-line block ×4, first 2 shown]
	s_mov_b32 s4, 0x134454ff
	s_waitcnt lgkmcnt(3)
	v_mul_f64 v[88:89], v[14:15], v[74:75]
	s_waitcnt lgkmcnt(2)
	v_mul_f64 v[90:91], v[10:11], v[78:79]
	;; [unrolled: 2-line block ×3, first 2 shown]
	v_mul_f64 v[18:19], v[18:19], v[80:81]
	v_mul_f64 v[14:15], v[14:15], v[72:73]
	;; [unrolled: 1-line block ×3, first 2 shown]
	s_mov_b32 s5, 0xbfee6f0e
	s_mov_b32 s14, 0x4755a5e
	v_fma_f64 v[96:97], v[12:13], v[72:73], v[88:89]
	v_fma_f64 v[98:99], v[8:9], v[76:77], v[90:91]
	ds_read_b128 v[88:91], v133
	s_waitcnt lgkmcnt(1)
	v_mul_f64 v[94:95], v[6:7], v[84:85]
	v_mul_f64 v[6:7], v[6:7], v[86:87]
	v_fma_f64 v[72:73], v[16:17], v[80:81], v[92:93]
	v_fma_f64 v[16:17], v[16:17], v[82:83], -v[18:19]
	v_fma_f64 v[12:13], v[12:13], v[74:75], -v[14:15]
	;; [unrolled: 1-line block ×3, first 2 shown]
	v_add_f64 v[76:77], v[96:97], v[98:99]
	s_mov_b32 s15, 0xbfe2cf23
	v_fma_f64 v[18:19], v[4:5], v[86:87], -v[94:95]
	v_fma_f64 v[6:7], v[4:5], v[84:85], v[6:7]
	s_waitcnt lgkmcnt(0)
	v_add_f64 v[4:5], v[88:89], v[72:73]
	s_mov_b32 s19, 0x3fee6f0e
	s_mov_b32 s18, s4
	v_add_f64 v[74:75], v[12:13], -v[10:11]
	v_fma_f64 v[8:9], v[76:77], -0.5, v[88:89]
	v_add_f64 v[76:77], v[72:73], -v[96:97]
	v_add_f64 v[14:15], v[16:17], -v[18:19]
	;; [unrolled: 1-line block ×3, first 2 shown]
	v_add_f64 v[80:81], v[72:73], v[6:7]
	v_add_f64 v[4:5], v[4:5], v[96:97]
	;; [unrolled: 1-line block ×3, first 2 shown]
	s_mov_b32 s16, 0x372fe950
	s_mov_b32 s17, 0x3fd3c6ef
	;; [unrolled: 1-line block ×3, first 2 shown]
	v_fma_f64 v[82:83], v[14:15], s[4:5], v[8:9]
	v_add_f64 v[76:77], v[76:77], v[78:79]
	v_fma_f64 v[78:79], v[80:81], -0.5, v[88:89]
	v_add_f64 v[4:5], v[4:5], v[98:99]
	v_fma_f64 v[86:87], v[14:15], s[18:19], v[8:9]
	s_mov_b32 s20, s14
	v_add_f64 v[92:93], v[98:99], -v[6:7]
	v_add_f64 v[94:95], v[90:91], v[16:17]
	v_fma_f64 v[80:81], v[74:75], s[14:15], v[82:83]
	v_add_f64 v[82:83], v[12:13], v[10:11]
	v_fma_f64 v[84:85], v[84:85], -0.5, v[90:91]
	v_add_f64 v[4:5], v[4:5], v[6:7]
	v_add_f64 v[6:7], v[72:73], -v[6:7]
	v_fma_f64 v[88:89], v[74:75], s[18:19], v[78:79]
	s_barrier
	v_fma_f64 v[8:9], v[76:77], s[16:17], v[80:81]
	v_add_f64 v[80:81], v[96:97], -v[72:73]
	v_fma_f64 v[82:83], v[82:83], -0.5, v[90:91]
	v_fma_f64 v[72:73], v[74:75], s[20:21], v[86:87]
	v_add_f64 v[86:87], v[96:97], -v[98:99]
	v_fma_f64 v[74:75], v[74:75], s[4:5], v[78:79]
	v_add_f64 v[78:79], v[94:95], v[12:13]
	v_add_f64 v[94:95], v[18:19], -v[10:11]
	v_fma_f64 v[88:89], v[14:15], s[14:15], v[88:89]
	v_add_f64 v[80:81], v[80:81], v[92:93]
	v_fma_f64 v[90:91], v[6:7], s[18:19], v[82:83]
	v_add_f64 v[92:93], v[16:17], -v[12:13]
	v_fma_f64 v[96:97], v[86:87], s[4:5], v[84:85]
	v_add_f64 v[12:13], v[12:13], -v[16:17]
	v_add_f64 v[16:17], v[10:11], -v[18:19]
	v_fma_f64 v[84:85], v[86:87], s[18:19], v[84:85]
	v_fma_f64 v[82:83], v[6:7], s[4:5], v[82:83]
	;; [unrolled: 1-line block ×3, first 2 shown]
	v_add_f64 v[10:11], v[78:79], v[10:11]
	v_fma_f64 v[74:75], v[86:87], s[20:21], v[90:91]
	v_add_f64 v[78:79], v[92:93], v[94:95]
	v_fma_f64 v[90:91], v[6:7], s[20:21], v[96:97]
	;; [unrolled: 2-line block ×3, first 2 shown]
	v_fma_f64 v[82:83], v[86:87], s[14:15], v[82:83]
	v_fma_f64 v[16:17], v[76:77], s[16:17], v[72:73]
	;; [unrolled: 1-line block ×4, first 2 shown]
	v_add_f64 v[6:7], v[10:11], v[18:19]
	v_fma_f64 v[10:11], v[78:79], s[16:17], v[74:75]
	v_fma_f64 v[74:75], v[92:93], s[16:17], v[90:91]
	;; [unrolled: 1-line block ×4, first 2 shown]
	ds_write_b128 v136, v[4:7]
	ds_write_b128 v136, v[8:11] offset:256
	ds_write_b128 v136, v[72:75] offset:512
	;; [unrolled: 1-line block ×4, first 2 shown]
	s_waitcnt lgkmcnt(0)
	s_barrier
	s_and_saveexec_b64 s[4:5], s[2:3]
	s_cbranch_execz .LBB0_19
; %bb.18:
	ds_read_b128 v[4:7], v133
	ds_read_b128 v[8:11], v133 offset:1280
	ds_read_b128 v[72:75], v133 offset:2560
	;; [unrolled: 1-line block ×9, first 2 shown]
.LBB0_19:
	s_or_b64 exec, exec, s[4:5]
	s_and_saveexec_b64 s[4:5], s[2:3]
	s_cbranch_execz .LBB0_21
; %bb.20:
	s_waitcnt lgkmcnt(5)
	v_mul_f64 v[76:77], v[26:27], v[16:17]
	s_waitcnt lgkmcnt(3)
	v_mul_f64 v[78:79], v[42:43], v[68:69]
	v_mul_f64 v[80:81], v[38:39], v[72:73]
	s_waitcnt lgkmcnt(1)
	v_mul_f64 v[82:83], v[50:51], v[64:65]
	v_mul_f64 v[38:39], v[38:39], v[74:75]
	;; [unrolled: 1-line block ×3, first 2 shown]
	s_mov_b32 s2, 0x134454ff
	s_mov_b32 s3, 0xbfee6f0e
	v_fma_f64 v[76:77], v[24:25], v[18:19], -v[76:77]
	v_fma_f64 v[78:79], v[40:41], v[70:71], -v[78:79]
	v_mul_f64 v[18:19], v[26:27], v[18:19]
	v_mul_f64 v[26:27], v[42:43], v[70:71]
	v_fma_f64 v[42:43], v[36:37], v[74:75], -v[80:81]
	v_fma_f64 v[66:67], v[48:49], v[66:67], -v[82:83]
	v_fma_f64 v[36:37], v[36:37], v[72:73], v[38:39]
	v_fma_f64 v[38:39], v[48:49], v[64:65], v[50:51]
	v_mul_f64 v[50:51], v[34:35], v[54:55]
	v_add_f64 v[48:49], v[78:79], v[76:77]
	v_mul_f64 v[64:65], v[30:31], v[58:59]
	v_fma_f64 v[18:19], v[24:25], v[16:17], v[18:19]
	v_fma_f64 v[24:25], v[40:41], v[68:69], v[26:27]
	v_mul_f64 v[68:69], v[22:23], v[14:15]
	s_waitcnt lgkmcnt(0)
	v_mul_f64 v[70:71], v[46:47], v[62:63]
	v_add_f64 v[16:17], v[42:43], -v[76:77]
	v_add_f64 v[26:27], v[66:67], -v[78:79]
	;; [unrolled: 1-line block ×3, first 2 shown]
	v_fma_f64 v[48:49], v[48:49], -0.5, v[6:7]
	v_mul_f64 v[72:73], v[2:3], v[10:11]
	v_fma_f64 v[50:51], v[32:33], v[52:53], v[50:51]
	v_fma_f64 v[64:65], v[28:29], v[56:57], v[64:65]
	v_mul_f64 v[22:23], v[22:23], v[12:13]
	v_mul_f64 v[46:47], v[46:47], v[60:61]
	;; [unrolled: 1-line block ×3, first 2 shown]
	v_fma_f64 v[52:53], v[20:21], v[12:13], v[68:69]
	v_mul_f64 v[12:13], v[30:31], v[56:57]
	v_fma_f64 v[30:31], v[44:45], v[60:61], v[70:71]
	v_add_f64 v[74:75], v[18:19], -v[24:25]
	v_add_f64 v[16:17], v[26:27], v[16:17]
	v_fma_f64 v[26:27], v[40:41], s[2:3], v[48:49]
	v_fma_f64 v[56:57], v[0:1], v[8:9], v[72:73]
	v_fma_f64 v[14:15], v[20:21], v[14:15], -v[22:23]
	v_fma_f64 v[20:21], v[44:45], v[62:63], -v[46:47]
	v_mul_f64 v[2:3], v[2:3], v[8:9]
	v_fma_f64 v[12:13], v[28:29], v[58:59], -v[12:13]
	v_add_f64 v[8:9], v[52:53], -v[50:51]
	v_add_f64 v[28:29], v[30:31], -v[64:65]
	s_mov_b32 s16, 0x4755a5e
	s_mov_b32 s17, 0xbfe2cf23
	v_add_f64 v[60:61], v[64:65], v[50:51]
	v_fma_f64 v[22:23], v[32:33], v[54:55], -v[34:35]
	v_fma_f64 v[0:1], v[0:1], v[10:11], -v[2:3]
	v_fma_f64 v[10:11], v[74:75], s[16:17], v[26:27]
	v_add_f64 v[58:59], v[20:21], -v[12:13]
	v_add_f64 v[26:27], v[28:29], v[8:9]
	v_add_f64 v[28:29], v[20:21], v[14:15]
	v_add_f64 v[62:63], v[50:51], -v[64:65]
	v_fma_f64 v[32:33], v[60:61], -0.5, v[56:57]
	v_add_f64 v[2:3], v[12:13], v[22:23]
	v_add_f64 v[54:55], v[14:15], -v[22:23]
	v_add_f64 v[60:61], v[30:31], v[52:53]
	s_mov_b32 s18, s2
	v_add_f64 v[44:45], v[52:53], -v[30:31]
	v_fma_f64 v[28:29], v[28:29], -0.5, v[0:1]
	v_add_f64 v[72:73], v[12:13], -v[20:21]
	s_mov_b32 s20, s16
	v_fma_f64 v[2:3], v[2:3], -0.5, v[0:1]
	v_add_f64 v[54:55], v[58:59], v[54:55]
	v_fma_f64 v[58:59], v[60:61], -0.5, v[56:57]
	v_add_f64 v[60:61], v[22:23], -v[14:15]
	v_add_f64 v[34:35], v[14:15], -v[20:21]
	v_fma_f64 v[80:81], v[62:63], s[18:19], v[28:29]
	v_fma_f64 v[28:29], v[62:63], s[2:3], v[28:29]
	v_add_f64 v[70:71], v[66:67], v[42:43]
	v_fma_f64 v[68:69], v[44:45], s[2:3], v[2:3]
	v_add_f64 v[46:47], v[22:23], -v[12:13]
	v_add_f64 v[0:1], v[14:15], v[0:1]
	v_add_f64 v[60:61], v[72:73], v[60:61]
	v_fma_f64 v[8:9], v[34:35], s[18:19], v[32:33]
	v_fma_f64 v[72:73], v[44:45], s[16:17], v[80:81]
	;; [unrolled: 1-line block ×4, first 2 shown]
	v_fma_f64 v[70:71], v[70:71], -0.5, v[6:7]
	v_fma_f64 v[32:33], v[34:35], s[2:3], v[32:33]
	v_add_f64 v[6:7], v[6:7], v[42:43]
	s_mov_b32 s14, 0x372fe950
	s_mov_b32 s15, 0x3fd3c6ef
	v_fma_f64 v[8:9], v[46:47], s[20:21], v[8:9]
	v_add_f64 v[82:83], v[50:51], -v[52:53]
	v_fma_f64 v[44:45], v[62:63], s[20:21], v[44:45]
	v_add_f64 v[84:85], v[64:65], -v[30:31]
	v_fma_f64 v[86:87], v[46:47], s[2:3], v[58:59]
	v_fma_f64 v[32:33], v[46:47], s[16:17], v[32:33]
	v_add_f64 v[6:7], v[76:77], v[6:7]
	v_add_f64 v[0:1], v[22:23], v[0:1]
	s_mov_b32 s22, 0x9b97f4a8
	s_mov_b32 s23, 0xbfe9e377
	v_fma_f64 v[44:45], v[54:55], s[14:15], v[44:45]
	s_mov_b32 s27, 0x3fe9e377
	s_mov_b32 s26, s22
	v_fma_f64 v[68:69], v[62:63], s[16:17], v[68:69]
	v_add_f64 v[82:83], v[84:85], v[82:83]
	v_fma_f64 v[84:85], v[34:35], s[20:21], v[86:87]
	v_fma_f64 v[86:87], v[26:27], s[14:15], v[8:9]
	;; [unrolled: 1-line block ×3, first 2 shown]
	v_add_f64 v[26:27], v[24:25], v[18:19]
	v_mul_f64 v[32:33], v[44:45], s[26:27]
	v_add_f64 v[6:7], v[78:79], v[6:7]
	v_add_f64 v[0:1], v[12:13], v[0:1]
	;; [unrolled: 1-line block ×3, first 2 shown]
	v_add_f64 v[80:81], v[76:77], -v[42:43]
	v_add_f64 v[88:89], v[78:79], -v[66:67]
	v_fma_f64 v[90:91], v[74:75], s[18:19], v[70:71]
	v_fma_f64 v[70:71], v[74:75], s[2:3], v[70:71]
	;; [unrolled: 1-line block ×5, first 2 shown]
	v_fma_f64 v[26:27], v[26:27], -0.5, v[4:5]
	v_add_f64 v[42:43], v[42:43], -v[66:67]
	v_fma_f64 v[48:49], v[22:23], s[20:21], v[32:33]
	v_add_f64 v[54:55], v[66:67], v[6:7]
	v_fma_f64 v[6:7], v[12:13], -0.5, v[4:5]
	v_add_f64 v[32:33], v[36:37], -v[18:19]
	v_add_f64 v[66:67], v[18:19], -v[36:37]
	v_add_f64 v[4:5], v[4:5], v[36:37]
	v_add_f64 v[36:37], v[52:53], v[56:57]
	;; [unrolled: 1-line block ×3, first 2 shown]
	v_fma_f64 v[70:71], v[40:41], s[20:21], v[70:71]
	v_fma_f64 v[34:35], v[34:35], s[16:17], v[58:59]
	v_add_f64 v[58:59], v[20:21], v[0:1]
	v_add_f64 v[0:1], v[76:77], -v[78:79]
	v_fma_f64 v[28:29], v[60:61], s[14:15], v[28:29]
	v_add_f64 v[4:5], v[18:19], v[4:5]
	v_add_f64 v[18:19], v[50:51], v[36:37]
	v_fma_f64 v[72:73], v[60:61], s[14:15], v[72:73]
	v_fma_f64 v[88:89], v[40:41], s[16:17], v[90:91]
	;; [unrolled: 1-line block ×4, first 2 shown]
	v_add_f64 v[60:61], v[38:39], -v[24:25]
	v_fma_f64 v[62:63], v[42:43], s[18:19], v[26:27]
	v_add_f64 v[70:71], v[24:25], -v[38:39]
	v_fma_f64 v[74:75], v[0:1], s[2:3], v[6:7]
	v_fma_f64 v[6:7], v[0:1], s[18:19], v[6:7]
	;; [unrolled: 1-line block ×4, first 2 shown]
	v_mul_f64 v[46:47], v[28:29], s[14:15]
	v_add_f64 v[4:5], v[24:25], v[4:5]
	v_add_f64 v[18:19], v[64:65], v[18:19]
	;; [unrolled: 1-line block ×3, first 2 shown]
	v_fma_f64 v[60:61], v[0:1], s[20:21], v[62:63]
	v_add_f64 v[56:57], v[70:71], v[66:67]
	v_fma_f64 v[62:63], v[42:43], s[20:21], v[74:75]
	v_fma_f64 v[36:37], v[42:43], s[16:17], v[6:7]
	;; [unrolled: 1-line block ×3, first 2 shown]
	v_mul_f64 v[24:25], v[44:45], s[16:17]
	s_mov_b32 s25, 0xbfd3c6ef
	s_mov_b32 s24, s14
	v_mul_f64 v[28:29], v[28:29], s[2:3]
	v_fma_f64 v[84:85], v[82:83], s[14:15], v[84:85]
	v_mul_f64 v[90:91], v[72:73], s[24:25]
	v_mul_f64 v[66:67], v[72:73], s[2:3]
	;; [unrolled: 1-line block ×4, first 2 shown]
	v_fma_f64 v[46:47], v[34:35], s[18:19], v[46:47]
	v_add_f64 v[4:5], v[38:39], v[4:5]
	v_add_f64 v[18:19], v[30:31], v[18:19]
	v_fma_f64 v[14:15], v[16:17], s[14:15], v[14:15]
	v_fma_f64 v[50:51], v[32:33], s[14:15], v[60:61]
	v_fma_f64 v[60:61], v[56:57], s[14:15], v[62:63]
	v_fma_f64 v[42:43], v[56:57], s[14:15], v[36:37]
	v_fma_f64 v[44:45], v[32:33], s[14:15], v[26:27]
	v_fma_f64 v[56:57], v[22:23], s[26:27], v[24:25]
	v_fma_f64 v[64:65], v[34:35], s[14:15], v[28:29]
	v_fma_f64 v[88:89], v[80:81], s[14:15], v[88:89]
	v_fma_f64 v[90:91], v[84:85], s[18:19], v[90:91]
	v_fma_f64 v[62:63], v[84:85], s[24:25], v[66:67]
	v_fma_f64 v[10:11], v[16:17], s[14:15], v[10:11]
	v_fma_f64 v[92:93], v[86:87], s[20:21], v[8:9]
	v_fma_f64 v[52:53], v[86:87], s[22:23], v[52:53]
	v_add_f64 v[12:13], v[40:41], -v[46:47]
	v_add_f64 v[32:33], v[40:41], v[46:47]
	v_add_f64 v[40:41], v[54:55], v[58:59]
	v_add_f64 v[38:39], v[4:5], v[18:19]
	v_add_f64 v[36:37], v[14:15], v[48:49]
	v_add_f64 v[34:35], v[44:45], v[56:57]
	v_add_f64 v[30:31], v[42:43], v[64:65]
	v_add_f64 v[28:29], v[88:89], v[90:91]
	v_add_f64 v[26:27], v[60:61], v[62:63]
	v_add_f64 v[24:25], v[10:11], v[92:93]
	v_add_f64 v[22:23], v[50:51], v[52:53]
	v_add_f64 v[20:21], v[54:55], -v[58:59]
	v_add_f64 v[18:19], v[4:5], -v[18:19]
	;; [unrolled: 1-line block ×9, first 2 shown]
	ds_write_b128 v133, v[38:41]
	ds_write_b128 v133, v[34:37] offset:1280
	ds_write_b128 v133, v[30:33] offset:2560
	ds_write_b128 v133, v[26:29] offset:3840
	ds_write_b128 v133, v[22:25] offset:5120
	ds_write_b128 v133, v[18:21] offset:6400
	ds_write_b128 v133, v[14:17] offset:7680
	ds_write_b128 v133, v[10:13] offset:8960
	ds_write_b128 v133, v[6:9] offset:10240
	ds_write_b128 v133, v[0:3] offset:11520
.LBB0_21:
	s_or_b64 exec, exec, s[4:5]
	s_waitcnt lgkmcnt(0)
	s_barrier
	s_and_b64 exec, exec, s[0:1]
	s_cbranch_execz .LBB0_23
; %bb.22:
	global_load_dwordx4 v[0:3], v133, s[12:13]
	global_load_dwordx4 v[4:7], v133, s[12:13] offset:800
	global_load_dwordx4 v[8:11], v133, s[12:13] offset:1600
	;; [unrolled: 1-line block ×4, first 2 shown]
	ds_read_b128 v[20:23], v133
	ds_read_b128 v[24:27], v133 offset:800
	global_load_dwordx4 v[28:31], v133, s[12:13] offset:4000
	v_mov_b32_e32 v48, s13
	v_add_co_u32_e32 v52, vcc, s12, v133
	s_movk_i32 s5, 0x1000
	v_addc_co_u32_e32 v53, vcc, 0, v48, vcc
	v_add_co_u32_e32 v76, vcc, s5, v52
	v_addc_co_u32_e32 v77, vcc, 0, v53, vcc
	ds_read_b128 v[32:35], v133 offset:1600
	ds_read_b128 v[36:39], v133 offset:2400
	;; [unrolled: 1-line block ×4, first 2 shown]
	global_load_dwordx4 v[48:51], v[76:77], off offset:704
	v_mov_b32_e32 v83, s7
	s_movk_i32 s7, 0x2000
	v_add_co_u32_e32 v78, vcc, s7, v52
	v_addc_co_u32_e32 v79, vcc, 0, v53, vcc
	global_load_dwordx4 v[52:55], v[76:77], off offset:1504
	global_load_dwordx4 v[56:59], v[76:77], off offset:2304
	;; [unrolled: 1-line block ×3, first 2 shown]
	v_mad_u64_u32 v[72:73], s[0:1], s10, v116, 0
	v_mad_u64_u32 v[74:75], s[2:3], s8, v134, 0
	s_mul_i32 s3, s9, 0x320
	s_mul_hi_u32 s4, s8, 0x320
	v_mov_b32_e32 v64, v73
	v_mov_b32_e32 v65, v75
	s_add_i32 s3, s4, s3
	v_mad_u64_u32 v[80:81], s[4:5], s11, v116, v[64:65]
	v_mad_u64_u32 v[81:82], s[4:5], s9, v134, v[65:66]
	v_mov_b32_e32 v73, v80
	v_lshlrev_b64 v[72:73], 4, v[72:73]
	global_load_dwordx4 v[64:67], v[76:77], off offset:3904
	global_load_dwordx4 v[68:71], v[78:79], off offset:608
	v_mov_b32_e32 v75, v81
	v_lshlrev_b64 v[74:75], 4, v[74:75]
	v_add_co_u32_e32 v72, vcc, s6, v72
	v_addc_co_u32_e32 v73, vcc, v83, v73, vcc
	v_add_co_u32_e32 v72, vcc, v72, v74
	s_mul_i32 s2, s8, 0x320
	v_addc_co_u32_e32 v73, vcc, v73, v75, vcc
	v_mov_b32_e32 v84, s3
	v_add_co_u32_e32 v74, vcc, s2, v72
	v_addc_co_u32_e32 v75, vcc, v73, v84, vcc
	v_mov_b32_e32 v85, s3
	v_add_co_u32_e32 v76, vcc, s2, v74
	v_addc_co_u32_e32 v77, vcc, v75, v85, vcc
	s_mov_b32 s0, 0x47ae147b
	s_mov_b32 s1, 0x3f547ae1
	v_mov_b32_e32 v90, s3
	s_waitcnt vmcnt(11) lgkmcnt(5)
	v_mul_f64 v[80:81], v[22:23], v[2:3]
	v_mul_f64 v[2:3], v[20:21], v[2:3]
	s_waitcnt vmcnt(10) lgkmcnt(4)
	v_mul_f64 v[82:83], v[26:27], v[6:7]
	v_mul_f64 v[6:7], v[24:25], v[6:7]
	;; [unrolled: 3-line block ×4, first 2 shown]
	v_fma_f64 v[20:21], v[20:21], v[0:1], v[80:81]
	v_fma_f64 v[2:3], v[0:1], v[22:23], -v[2:3]
	v_fma_f64 v[22:23], v[24:25], v[4:5], v[82:83]
	v_fma_f64 v[6:7], v[4:5], v[26:27], -v[6:7]
	;; [unrolled: 2-line block ×3, first 2 shown]
	s_waitcnt vmcnt(7) lgkmcnt(1)
	v_mul_f64 v[88:89], v[42:43], v[18:19]
	v_mul_f64 v[18:19], v[40:41], v[18:19]
	v_fma_f64 v[26:27], v[36:37], v[12:13], v[86:87]
	v_fma_f64 v[14:15], v[12:13], v[38:39], -v[14:15]
	v_mul_f64 v[0:1], v[20:21], s[0:1]
	v_mul_f64 v[2:3], v[2:3], s[0:1]
	;; [unrolled: 1-line block ×6, first 2 shown]
	s_waitcnt vmcnt(6) lgkmcnt(0)
	v_mul_f64 v[20:21], v[46:47], v[30:31]
	v_fma_f64 v[22:23], v[40:41], v[16:17], v[88:89]
	v_fma_f64 v[16:17], v[16:17], v[42:43], -v[18:19]
	v_mul_f64 v[12:13], v[26:27], s[0:1]
	v_mul_f64 v[14:15], v[14:15], s[0:1]
	global_store_dwordx4 v[72:73], v[0:3], off
	global_store_dwordx4 v[74:75], v[4:7], off
	;; [unrolled: 1-line block ×3, first 2 shown]
	ds_read_b128 v[4:7], v133 offset:4800
	v_mul_f64 v[8:9], v[44:45], v[30:31]
	v_add_co_u32_e32 v18, vcc, s2, v76
	v_addc_co_u32_e32 v19, vcc, v77, v90, vcc
	global_store_dwordx4 v[18:19], v[12:15], off
	v_mul_f64 v[0:1], v[22:23], s[0:1]
	v_mul_f64 v[2:3], v[16:17], s[0:1]
	v_fma_f64 v[12:13], v[44:45], v[28:29], v[20:21]
	v_fma_f64 v[14:15], v[28:29], v[46:47], -v[8:9]
	ds_read_b128 v[8:11], v133 offset:5600
	s_waitcnt vmcnt(9) lgkmcnt(1)
	v_mul_f64 v[16:17], v[6:7], v[50:51]
	v_mul_f64 v[20:21], v[4:5], v[50:51]
	v_mov_b32_e32 v22, s3
	v_add_co_u32_e32 v18, vcc, s2, v18
	v_addc_co_u32_e32 v19, vcc, v19, v22, vcc
	global_store_dwordx4 v[18:19], v[0:3], off
	v_fma_f64 v[4:5], v[4:5], v[48:49], v[16:17]
	v_mul_f64 v[0:1], v[12:13], s[0:1]
	v_mul_f64 v[2:3], v[14:15], s[0:1]
	v_fma_f64 v[6:7], v[48:49], v[6:7], -v[20:21]
	s_waitcnt vmcnt(9) lgkmcnt(0)
	v_mul_f64 v[12:13], v[10:11], v[54:55]
	v_mul_f64 v[14:15], v[8:9], v[54:55]
	v_add_co_u32_e32 v16, vcc, s2, v18
	v_addc_co_u32_e32 v17, vcc, v19, v22, vcc
	global_store_dwordx4 v[16:17], v[0:3], off
	v_add_co_u32_e32 v16, vcc, s2, v16
	v_mul_f64 v[0:1], v[4:5], s[0:1]
	v_mul_f64 v[2:3], v[6:7], s[0:1]
	ds_read_b128 v[4:7], v133 offset:6400
	v_fma_f64 v[12:13], v[8:9], v[52:53], v[12:13]
	v_fma_f64 v[14:15], v[52:53], v[10:11], -v[14:15]
	ds_read_b128 v[8:11], v133 offset:7200
	v_addc_co_u32_e32 v17, vcc, v17, v22, vcc
	s_waitcnt vmcnt(9) lgkmcnt(1)
	v_mul_f64 v[18:19], v[6:7], v[58:59]
	v_mul_f64 v[20:21], v[4:5], v[58:59]
	global_store_dwordx4 v[16:17], v[0:3], off
	v_add_co_u32_e32 v16, vcc, s2, v16
	v_mul_f64 v[0:1], v[12:13], s[0:1]
	v_mul_f64 v[2:3], v[14:15], s[0:1]
	s_waitcnt vmcnt(9) lgkmcnt(0)
	v_mul_f64 v[12:13], v[10:11], v[62:63]
	v_fma_f64 v[4:5], v[4:5], v[56:57], v[18:19]
	v_fma_f64 v[6:7], v[56:57], v[6:7], -v[20:21]
	v_mul_f64 v[14:15], v[8:9], v[62:63]
	v_addc_co_u32_e32 v17, vcc, v17, v22, vcc
	v_mov_b32_e32 v18, s3
	global_store_dwordx4 v[16:17], v[0:3], off
	v_fma_f64 v[12:13], v[8:9], v[60:61], v[12:13]
	v_mul_f64 v[0:1], v[4:5], s[0:1]
	v_mul_f64 v[2:3], v[6:7], s[0:1]
	v_fma_f64 v[14:15], v[60:61], v[10:11], -v[14:15]
	ds_read_b128 v[4:7], v133 offset:8000
	ds_read_b128 v[8:11], v133 offset:8800
	v_add_co_u32_e32 v16, vcc, s2, v16
	v_addc_co_u32_e32 v17, vcc, v17, v18, vcc
	s_waitcnt vmcnt(9) lgkmcnt(1)
	v_mul_f64 v[18:19], v[6:7], v[66:67]
	v_mul_f64 v[20:21], v[4:5], v[66:67]
	s_waitcnt vmcnt(8) lgkmcnt(0)
	v_mul_f64 v[22:23], v[10:11], v[70:71]
	v_mul_f64 v[24:25], v[8:9], v[70:71]
	global_store_dwordx4 v[16:17], v[0:3], off
	v_fma_f64 v[4:5], v[4:5], v[64:65], v[18:19]
	v_mul_f64 v[0:1], v[12:13], s[0:1]
	v_mul_f64 v[2:3], v[14:15], s[0:1]
	v_fma_f64 v[6:7], v[64:65], v[6:7], -v[20:21]
	v_fma_f64 v[8:9], v[8:9], v[68:69], v[22:23]
	v_fma_f64 v[10:11], v[68:69], v[10:11], -v[24:25]
	v_mov_b32_e32 v13, s3
	v_add_co_u32_e32 v12, vcc, s2, v16
	v_addc_co_u32_e32 v13, vcc, v17, v13, vcc
	global_store_dwordx4 v[12:13], v[0:3], off
	v_mov_b32_e32 v14, s3
	v_mul_f64 v[0:1], v[4:5], s[0:1]
	v_mul_f64 v[2:3], v[6:7], s[0:1]
	;; [unrolled: 1-line block ×4, first 2 shown]
	v_add_co_u32_e32 v8, vcc, s2, v12
	v_addc_co_u32_e32 v9, vcc, v13, v14, vcc
	v_add_co_u32_e32 v12, vcc, s2, v8
	global_store_dwordx4 v[8:9], v[0:3], off
	s_nop 0
	v_mov_b32_e32 v0, s3
	v_addc_co_u32_e32 v13, vcc, v9, v0, vcc
	global_store_dwordx4 v[12:13], v[4:7], off
	global_load_dwordx4 v[0:3], v[78:79], off offset:1408
	ds_read_b128 v[4:7], v133 offset:9600
	ds_read_b128 v[8:11], v133 offset:10400
	s_waitcnt vmcnt(0) lgkmcnt(1)
	v_mul_f64 v[14:15], v[6:7], v[2:3]
	v_mul_f64 v[2:3], v[4:5], v[2:3]
	v_fma_f64 v[4:5], v[4:5], v[0:1], v[14:15]
	v_fma_f64 v[2:3], v[0:1], v[6:7], -v[2:3]
	v_mul_f64 v[0:1], v[4:5], s[0:1]
	v_mul_f64 v[2:3], v[2:3], s[0:1]
	v_mov_b32_e32 v5, s3
	v_add_co_u32_e32 v4, vcc, s2, v12
	v_addc_co_u32_e32 v5, vcc, v13, v5, vcc
	v_add_co_u32_e32 v12, vcc, s2, v4
	global_store_dwordx4 v[4:5], v[0:3], off
	global_load_dwordx4 v[0:3], v[78:79], off offset:2208
	s_waitcnt vmcnt(0) lgkmcnt(0)
	v_mul_f64 v[6:7], v[10:11], v[2:3]
	v_mul_f64 v[2:3], v[8:9], v[2:3]
	v_fma_f64 v[6:7], v[8:9], v[0:1], v[6:7]
	v_fma_f64 v[2:3], v[0:1], v[10:11], -v[2:3]
	v_mul_f64 v[0:1], v[6:7], s[0:1]
	v_mul_f64 v[2:3], v[2:3], s[0:1]
	v_mov_b32_e32 v6, s3
	v_addc_co_u32_e32 v13, vcc, v5, v6, vcc
	global_store_dwordx4 v[12:13], v[0:3], off
	global_load_dwordx4 v[0:3], v[78:79], off offset:3008
	ds_read_b128 v[4:7], v133 offset:11200
	ds_read_b128 v[8:11], v133 offset:12000
	s_waitcnt vmcnt(0) lgkmcnt(1)
	v_mul_f64 v[14:15], v[6:7], v[2:3]
	v_mul_f64 v[2:3], v[4:5], v[2:3]
	v_fma_f64 v[4:5], v[4:5], v[0:1], v[14:15]
	v_fma_f64 v[2:3], v[0:1], v[6:7], -v[2:3]
	v_mul_f64 v[0:1], v[4:5], s[0:1]
	v_mul_f64 v[2:3], v[2:3], s[0:1]
	v_mov_b32_e32 v5, s3
	v_add_co_u32_e32 v4, vcc, s2, v12
	v_addc_co_u32_e32 v5, vcc, v13, v5, vcc
	global_store_dwordx4 v[4:5], v[0:3], off
	global_load_dwordx4 v[0:3], v[78:79], off offset:3808
	v_add_co_u32_e32 v4, vcc, s2, v4
	s_waitcnt vmcnt(0) lgkmcnt(0)
	v_mul_f64 v[6:7], v[10:11], v[2:3]
	v_mul_f64 v[2:3], v[8:9], v[2:3]
	v_fma_f64 v[6:7], v[8:9], v[0:1], v[6:7]
	v_fma_f64 v[2:3], v[0:1], v[10:11], -v[2:3]
	v_mul_f64 v[0:1], v[6:7], s[0:1]
	v_mul_f64 v[2:3], v[2:3], s[0:1]
	v_mov_b32_e32 v6, s3
	v_addc_co_u32_e32 v5, vcc, v5, v6, vcc
	global_store_dwordx4 v[4:5], v[0:3], off
.LBB0_23:
	s_endpgm
	.section	.rodata,"a",@progbits
	.p2align	6, 0x0
	.amdhsa_kernel bluestein_single_back_len800_dim1_dp_op_CI_CI
		.amdhsa_group_segment_fixed_size 12800
		.amdhsa_private_segment_fixed_size 0
		.amdhsa_kernarg_size 104
		.amdhsa_user_sgpr_count 6
		.amdhsa_user_sgpr_private_segment_buffer 1
		.amdhsa_user_sgpr_dispatch_ptr 0
		.amdhsa_user_sgpr_queue_ptr 0
		.amdhsa_user_sgpr_kernarg_segment_ptr 1
		.amdhsa_user_sgpr_dispatch_id 0
		.amdhsa_user_sgpr_flat_scratch_init 0
		.amdhsa_user_sgpr_private_segment_size 0
		.amdhsa_uses_dynamic_stack 0
		.amdhsa_system_sgpr_private_segment_wavefront_offset 0
		.amdhsa_system_sgpr_workgroup_id_x 1
		.amdhsa_system_sgpr_workgroup_id_y 0
		.amdhsa_system_sgpr_workgroup_id_z 0
		.amdhsa_system_sgpr_workgroup_info 0
		.amdhsa_system_vgpr_workitem_id 0
		.amdhsa_next_free_vgpr 253
		.amdhsa_next_free_sgpr 28
		.amdhsa_reserve_vcc 1
		.amdhsa_reserve_flat_scratch 0
		.amdhsa_float_round_mode_32 0
		.amdhsa_float_round_mode_16_64 0
		.amdhsa_float_denorm_mode_32 3
		.amdhsa_float_denorm_mode_16_64 3
		.amdhsa_dx10_clamp 1
		.amdhsa_ieee_mode 1
		.amdhsa_fp16_overflow 0
		.amdhsa_exception_fp_ieee_invalid_op 0
		.amdhsa_exception_fp_denorm_src 0
		.amdhsa_exception_fp_ieee_div_zero 0
		.amdhsa_exception_fp_ieee_overflow 0
		.amdhsa_exception_fp_ieee_underflow 0
		.amdhsa_exception_fp_ieee_inexact 0
		.amdhsa_exception_int_div_zero 0
	.end_amdhsa_kernel
	.text
.Lfunc_end0:
	.size	bluestein_single_back_len800_dim1_dp_op_CI_CI, .Lfunc_end0-bluestein_single_back_len800_dim1_dp_op_CI_CI
                                        ; -- End function
	.section	.AMDGPU.csdata,"",@progbits
; Kernel info:
; codeLenInByte = 12412
; NumSgprs: 32
; NumVgprs: 253
; ScratchSize: 0
; MemoryBound: 0
; FloatMode: 240
; IeeeMode: 1
; LDSByteSize: 12800 bytes/workgroup (compile time only)
; SGPRBlocks: 3
; VGPRBlocks: 63
; NumSGPRsForWavesPerEU: 32
; NumVGPRsForWavesPerEU: 253
; Occupancy: 1
; WaveLimiterHint : 1
; COMPUTE_PGM_RSRC2:SCRATCH_EN: 0
; COMPUTE_PGM_RSRC2:USER_SGPR: 6
; COMPUTE_PGM_RSRC2:TRAP_HANDLER: 0
; COMPUTE_PGM_RSRC2:TGID_X_EN: 1
; COMPUTE_PGM_RSRC2:TGID_Y_EN: 0
; COMPUTE_PGM_RSRC2:TGID_Z_EN: 0
; COMPUTE_PGM_RSRC2:TIDIG_COMP_CNT: 0
	.type	__hip_cuid_842d189a01963c68,@object ; @__hip_cuid_842d189a01963c68
	.section	.bss,"aw",@nobits
	.globl	__hip_cuid_842d189a01963c68
__hip_cuid_842d189a01963c68:
	.byte	0                               ; 0x0
	.size	__hip_cuid_842d189a01963c68, 1

	.ident	"AMD clang version 19.0.0git (https://github.com/RadeonOpenCompute/llvm-project roc-6.4.0 25133 c7fe45cf4b819c5991fe208aaa96edf142730f1d)"
	.section	".note.GNU-stack","",@progbits
	.addrsig
	.addrsig_sym __hip_cuid_842d189a01963c68
	.amdgpu_metadata
---
amdhsa.kernels:
  - .args:
      - .actual_access:  read_only
        .address_space:  global
        .offset:         0
        .size:           8
        .value_kind:     global_buffer
      - .actual_access:  read_only
        .address_space:  global
        .offset:         8
        .size:           8
        .value_kind:     global_buffer
      - .actual_access:  read_only
        .address_space:  global
        .offset:         16
        .size:           8
        .value_kind:     global_buffer
      - .actual_access:  read_only
        .address_space:  global
        .offset:         24
        .size:           8
        .value_kind:     global_buffer
      - .actual_access:  read_only
        .address_space:  global
        .offset:         32
        .size:           8
        .value_kind:     global_buffer
      - .offset:         40
        .size:           8
        .value_kind:     by_value
      - .address_space:  global
        .offset:         48
        .size:           8
        .value_kind:     global_buffer
      - .address_space:  global
        .offset:         56
        .size:           8
        .value_kind:     global_buffer
      - .address_space:  global
        .offset:         64
        .size:           8
        .value_kind:     global_buffer
      - .address_space:  global
        .offset:         72
        .size:           8
        .value_kind:     global_buffer
      - .offset:         80
        .size:           4
        .value_kind:     by_value
      - .address_space:  global
        .offset:         88
        .size:           8
        .value_kind:     global_buffer
      - .address_space:  global
        .offset:         96
        .size:           8
        .value_kind:     global_buffer
    .group_segment_fixed_size: 12800
    .kernarg_segment_align: 8
    .kernarg_segment_size: 104
    .language:       OpenCL C
    .language_version:
      - 2
      - 0
    .max_flat_workgroup_size: 160
    .name:           bluestein_single_back_len800_dim1_dp_op_CI_CI
    .private_segment_fixed_size: 0
    .sgpr_count:     32
    .sgpr_spill_count: 0
    .symbol:         bluestein_single_back_len800_dim1_dp_op_CI_CI.kd
    .uniform_work_group_size: 1
    .uses_dynamic_stack: false
    .vgpr_count:     253
    .vgpr_spill_count: 0
    .wavefront_size: 64
amdhsa.target:   amdgcn-amd-amdhsa--gfx906
amdhsa.version:
  - 1
  - 2
...

	.end_amdgpu_metadata
